;; amdgpu-corpus repo=ROCm/rocFFT kind=compiled arch=gfx950 opt=O3
	.text
	.amdgcn_target "amdgcn-amd-amdhsa--gfx950"
	.amdhsa_code_object_version 6
	.protected	fft_rtc_fwd_len84_factors_7_2_6_wgs_336_tpt_14_sp_ip_CI_sbcc_twdbase8_2step_dirReg_intrinsicReadWrite ; -- Begin function fft_rtc_fwd_len84_factors_7_2_6_wgs_336_tpt_14_sp_ip_CI_sbcc_twdbase8_2step_dirReg_intrinsicReadWrite
	.globl	fft_rtc_fwd_len84_factors_7_2_6_wgs_336_tpt_14_sp_ip_CI_sbcc_twdbase8_2step_dirReg_intrinsicReadWrite
	.p2align	8
	.type	fft_rtc_fwd_len84_factors_7_2_6_wgs_336_tpt_14_sp_ip_CI_sbcc_twdbase8_2step_dirReg_intrinsicReadWrite,@function
fft_rtc_fwd_len84_factors_7_2_6_wgs_336_tpt_14_sp_ip_CI_sbcc_twdbase8_2step_dirReg_intrinsicReadWrite: ; @fft_rtc_fwd_len84_factors_7_2_6_wgs_336_tpt_14_sp_ip_CI_sbcc_twdbase8_2step_dirReg_intrinsicReadWrite
; %bb.0:
	s_load_dwordx4 s[12:15], s[0:1], 0x18
	s_mov_b32 s3, 0
	s_mov_b64 s[26:27], 0
	s_waitcnt lgkmcnt(0)
	s_load_dwordx2 s[20:21], s[12:13], 0x8
	s_waitcnt lgkmcnt(0)
	s_add_u32 s4, s20, -1
	s_addc_u32 s5, s21, -1
	s_add_u32 s6, 0, 0xaaaa0000
	s_addc_u32 s7, 0, 42
	s_mul_hi_u32 s9, s6, 0xffffffe8
	s_add_i32 s7, s7, 0xaaaaa80
	s_sub_i32 s9, s9, s6
	s_mul_i32 s16, s7, 0xffffffe8
	s_mul_i32 s8, s6, 0xffffffe8
	s_add_i32 s9, s9, s16
	s_mul_hi_u32 s10, s7, s8
	s_mul_i32 s11, s7, s8
	s_mul_i32 s17, s6, s9
	s_mul_hi_u32 s8, s6, s8
	s_mul_hi_u32 s16, s6, s9
	s_add_u32 s8, s8, s17
	s_addc_u32 s16, 0, s16
	s_add_u32 s8, s8, s11
	s_mul_hi_u32 s17, s7, s9
	s_addc_u32 s8, s16, s10
	s_addc_u32 s10, s17, 0
	s_mul_i32 s9, s7, s9
	s_add_u32 s8, s8, s9
	v_mov_b32_e32 v1, s8
	s_addc_u32 s9, 0, s10
	v_add_co_u32_e32 v1, vcc, s6, v1
	s_cmp_lg_u64 vcc, 0
	s_addc_u32 s6, s7, s9
	v_readfirstlane_b32 s9, v1
	s_mul_i32 s8, s4, s6
	s_mul_hi_u32 s10, s4, s9
	s_mul_hi_u32 s7, s4, s6
	s_add_u32 s8, s10, s8
	s_addc_u32 s7, 0, s7
	s_mul_hi_u32 s11, s5, s9
	s_mul_i32 s9, s5, s9
	s_add_u32 s8, s8, s9
	s_mul_hi_u32 s10, s5, s6
	s_addc_u32 s7, s7, s11
	s_addc_u32 s8, s10, 0
	s_mul_i32 s6, s5, s6
	s_add_u32 s6, s7, s6
	s_addc_u32 s7, 0, s8
	s_add_u32 s8, s6, 1
	s_addc_u32 s9, s7, 0
	s_add_u32 s10, s6, 2
	s_mul_i32 s16, s7, 24
	s_mul_hi_u32 s17, s6, 24
	s_addc_u32 s11, s7, 0
	s_add_i32 s17, s17, s16
	s_mul_i32 s16, s6, 24
	v_mov_b32_e32 v1, s16
	v_sub_co_u32_e32 v1, vcc, s4, v1
	s_cmp_lg_u64 vcc, 0
	s_subb_u32 s4, s5, s17
	v_subrev_co_u32_e32 v2, vcc, 24, v1
	s_cmp_lg_u64 vcc, 0
	s_subb_u32 s5, s4, 0
	v_readfirstlane_b32 s16, v2
	s_cmp_gt_u32 s16, 23
	s_cselect_b32 s16, -1, 0
	s_cmp_eq_u32 s5, 0
	s_cselect_b32 s5, s16, -1
	s_cmp_lg_u32 s5, 0
	s_cselect_b32 s5, s10, s8
	s_cselect_b32 s8, s11, s9
	v_readfirstlane_b32 s9, v1
	s_cmp_gt_u32 s9, 23
	s_cselect_b32 s9, -1, 0
	s_cmp_eq_u32 s4, 0
	s_cselect_b32 s4, s9, -1
	s_cmp_lg_u32 s4, 0
	s_cselect_b32 s5, s5, s6
	s_cselect_b32 s4, s8, s7
	s_add_u32 s22, s5, 1
	s_addc_u32 s23, s4, 0
	v_mov_b64_e32 v[2:3], s[22:23]
	v_cmp_lt_u64_e32 vcc, s[2:3], v[2:3]
	s_cbranch_vccnz .LBB0_2
; %bb.1:
	v_cvt_f32_u32_e32 v1, s22
	s_sub_i32 s4, 0, s22
	s_mov_b32 s27, s3
	v_rcp_iflag_f32_e32 v1, v1
	s_nop 0
	v_mul_f32_e32 v1, 0x4f7ffffe, v1
	v_cvt_u32_f32_e32 v1, v1
	s_nop 0
	v_readfirstlane_b32 s5, v1
	s_mul_i32 s4, s4, s5
	s_mul_hi_u32 s4, s5, s4
	s_add_i32 s5, s5, s4
	s_mul_hi_u32 s4, s2, s5
	s_mul_i32 s6, s4, s22
	s_sub_i32 s6, s2, s6
	s_add_i32 s5, s4, 1
	s_sub_i32 s7, s6, s22
	s_cmp_ge_u32 s6, s22
	s_cselect_b32 s4, s5, s4
	s_cselect_b32 s6, s7, s6
	s_add_i32 s5, s4, 1
	s_cmp_ge_u32 s6, s22
	s_cselect_b32 s26, s5, s4
.LBB0_2:
	s_load_dwordx2 s[16:17], s[0:1], 0x58
	s_load_dwordx4 s[4:7], s[14:15], 0x0
	s_load_dwordx2 s[18:19], s[0:1], 0x0
	s_load_dwordx4 s[8:11], s[0:1], 0x8
	s_mul_i32 s0, s26, s23
	s_mul_hi_u32 s1, s26, s22
	s_add_i32 s1, s1, s0
	s_mul_i32 s0, s26, s22
	s_sub_u32 s0, s2, s0
	s_subb_u32 s1, 0, s1
	s_mul_i32 s1, s1, 24
	s_waitcnt lgkmcnt(0)
	s_mul_hi_u32 s5, s0, 24
	s_add_i32 s25, s5, s1
	s_mul_i32 s24, s0, 24
	s_mul_i32 s0, s6, s25
	s_mul_hi_u32 s1, s6, s24
	s_add_i32 s0, s1, s0
	s_mul_i32 s1, s7, s24
	s_add_i32 s7, s0, s1
	v_cmp_lt_u64_e64 s[0:1], s[10:11], 3
	s_mul_i32 s5, s6, s24
	s_and_b64 vcc, exec, s[0:1]
	s_cbranch_vccnz .LBB0_12
; %bb.3:
	s_add_u32 s28, s14, 16
	s_addc_u32 s29, s15, 0
	s_add_u32 s12, s12, 16
	s_addc_u32 s13, s13, 0
	s_mov_b64 s[30:31], 2
	s_mov_b32 s34, 0
	v_mov_b64_e32 v[2:3], s[10:11]
.LBB0_4:                                ; =>This Inner Loop Header: Depth=1
	s_load_dwordx2 s[36:37], s[12:13], 0x0
	s_waitcnt lgkmcnt(0)
	s_or_b64 s[0:1], s[26:27], s[36:37]
	s_mov_b32 s35, s1
	s_cmp_lg_u64 s[34:35], 0
	s_cbranch_scc0 .LBB0_9
; %bb.5:                                ;   in Loop: Header=BB0_4 Depth=1
	v_cvt_f32_u32_e32 v1, s36
	v_cvt_f32_u32_e32 v4, s37
	s_sub_u32 s0, 0, s36
	s_subb_u32 s1, 0, s37
	v_fmac_f32_e32 v1, 0x4f800000, v4
	v_rcp_f32_e32 v1, v1
	s_nop 0
	v_mul_f32_e32 v1, 0x5f7ffffc, v1
	v_mul_f32_e32 v4, 0x2f800000, v1
	v_trunc_f32_e32 v4, v4
	v_fmac_f32_e32 v1, 0xcf800000, v4
	v_cvt_u32_f32_e32 v4, v4
	v_cvt_u32_f32_e32 v1, v1
	v_readfirstlane_b32 s33, v4
	v_readfirstlane_b32 s35, v1
	s_mul_i32 s38, s0, s33
	s_mul_hi_u32 s40, s0, s35
	s_mul_i32 s39, s1, s35
	s_add_i32 s38, s40, s38
	s_mul_i32 s41, s0, s35
	s_add_i32 s38, s38, s39
	s_mul_hi_u32 s39, s35, s38
	s_mul_i32 s40, s35, s38
	s_mul_hi_u32 s35, s35, s41
	s_add_u32 s35, s35, s40
	s_addc_u32 s39, 0, s39
	s_mul_hi_u32 s42, s33, s41
	s_mul_i32 s41, s33, s41
	s_add_u32 s35, s35, s41
	s_mul_hi_u32 s40, s33, s38
	s_addc_u32 s35, s39, s42
	s_addc_u32 s39, s40, 0
	s_mul_i32 s38, s33, s38
	s_add_u32 s35, s35, s38
	s_addc_u32 s38, 0, s39
	v_add_co_u32_e32 v1, vcc, s35, v1
	s_cmp_lg_u64 vcc, 0
	s_addc_u32 s33, s33, s38
	v_readfirstlane_b32 s38, v1
	s_mul_i32 s35, s0, s33
	s_mul_hi_u32 s39, s0, s38
	s_add_i32 s35, s39, s35
	s_mul_i32 s1, s1, s38
	s_add_i32 s35, s35, s1
	s_mul_i32 s0, s0, s38
	s_mul_hi_u32 s39, s33, s0
	s_mul_i32 s40, s33, s0
	s_mul_i32 s42, s38, s35
	s_mul_hi_u32 s0, s38, s0
	s_mul_hi_u32 s41, s38, s35
	s_add_u32 s0, s0, s42
	s_addc_u32 s38, 0, s41
	s_add_u32 s0, s0, s40
	s_mul_hi_u32 s1, s33, s35
	s_addc_u32 s0, s38, s39
	s_addc_u32 s1, s1, 0
	s_mul_i32 s35, s33, s35
	s_add_u32 s0, s0, s35
	s_addc_u32 s1, 0, s1
	v_add_co_u32_e32 v1, vcc, s0, v1
	s_cmp_lg_u64 vcc, 0
	s_addc_u32 s0, s33, s1
	v_readfirstlane_b32 s35, v1
	s_mul_i32 s33, s26, s0
	s_mul_hi_u32 s38, s26, s35
	s_mul_hi_u32 s1, s26, s0
	s_add_u32 s33, s38, s33
	s_addc_u32 s1, 0, s1
	s_mul_hi_u32 s39, s27, s35
	s_mul_i32 s35, s27, s35
	s_add_u32 s33, s33, s35
	s_mul_hi_u32 s38, s27, s0
	s_addc_u32 s1, s1, s39
	s_addc_u32 s33, s38, 0
	s_mul_i32 s0, s27, s0
	s_add_u32 s35, s1, s0
	s_addc_u32 s33, 0, s33
	s_mul_i32 s0, s36, s33
	s_mul_hi_u32 s1, s36, s35
	s_add_i32 s0, s1, s0
	s_mul_i32 s1, s37, s35
	s_add_i32 s38, s0, s1
	s_mul_i32 s1, s36, s35
	v_mov_b32_e32 v1, s1
	s_sub_i32 s0, s27, s38
	v_sub_co_u32_e32 v1, vcc, s26, v1
	s_cmp_lg_u64 vcc, 0
	s_subb_u32 s39, s0, s37
	v_subrev_co_u32_e64 v4, s[0:1], s36, v1
	s_cmp_lg_u64 s[0:1], 0
	s_subb_u32 s0, s39, 0
	s_cmp_ge_u32 s0, s37
	v_readfirstlane_b32 s39, v4
	s_cselect_b32 s1, -1, 0
	s_cmp_ge_u32 s39, s36
	s_cselect_b32 s39, -1, 0
	s_cmp_eq_u32 s0, s37
	s_cselect_b32 s0, s39, s1
	s_add_u32 s1, s35, 1
	s_addc_u32 s39, s33, 0
	s_add_u32 s40, s35, 2
	s_addc_u32 s41, s33, 0
	s_cmp_lg_u32 s0, 0
	s_cselect_b32 s0, s40, s1
	s_cselect_b32 s1, s41, s39
	s_cmp_lg_u64 vcc, 0
	s_subb_u32 s38, s27, s38
	s_cmp_ge_u32 s38, s37
	v_readfirstlane_b32 s40, v1
	s_cselect_b32 s39, -1, 0
	s_cmp_ge_u32 s40, s36
	s_cselect_b32 s40, -1, 0
	s_cmp_eq_u32 s38, s37
	s_cselect_b32 s38, s40, s39
	s_cmp_lg_u32 s38, 0
	s_cselect_b32 s1, s1, s33
	s_cselect_b32 s0, s0, s35
	s_cbranch_execnz .LBB0_7
.LBB0_6:                                ;   in Loop: Header=BB0_4 Depth=1
	v_cvt_f32_u32_e32 v1, s36
	s_sub_i32 s0, 0, s36
	v_rcp_iflag_f32_e32 v1, v1
	s_nop 0
	v_mul_f32_e32 v1, 0x4f7ffffe, v1
	v_cvt_u32_f32_e32 v1, v1
	s_nop 0
	v_readfirstlane_b32 s1, v1
	s_mul_i32 s0, s0, s1
	s_mul_hi_u32 s0, s1, s0
	s_add_i32 s1, s1, s0
	s_mul_hi_u32 s0, s26, s1
	s_mul_i32 s33, s0, s36
	s_sub_i32 s33, s26, s33
	s_add_i32 s1, s0, 1
	s_sub_i32 s35, s33, s36
	s_cmp_ge_u32 s33, s36
	s_cselect_b32 s0, s1, s0
	s_cselect_b32 s33, s35, s33
	s_add_i32 s1, s0, 1
	s_cmp_ge_u32 s33, s36
	s_cselect_b32 s0, s1, s0
	s_mov_b32 s1, s34
.LBB0_7:                                ;   in Loop: Header=BB0_4 Depth=1
	s_mul_i32 s23, s36, s23
	s_mul_hi_u32 s33, s36, s22
	s_add_i32 s23, s33, s23
	s_mul_i32 s33, s37, s22
	s_add_i32 s23, s23, s33
	s_mul_i32 s33, s0, s37
	s_mul_hi_u32 s35, s0, s36
	s_load_dwordx2 s[38:39], s[28:29], 0x0
	s_add_i32 s33, s35, s33
	s_mul_i32 s35, s1, s36
	s_add_i32 s33, s33, s35
	s_mul_i32 s35, s0, s36
	s_sub_u32 s26, s26, s35
	s_subb_u32 s27, s27, s33
	s_waitcnt lgkmcnt(0)
	s_mul_i32 s27, s38, s27
	s_mul_hi_u32 s33, s38, s26
	s_add_i32 s27, s33, s27
	s_mul_i32 s33, s39, s26
	s_add_i32 s27, s27, s33
	s_mul_i32 s26, s38, s26
	s_add_u32 s5, s26, s5
	s_addc_u32 s7, s27, s7
	s_add_u32 s30, s30, 1
	s_addc_u32 s31, s31, 0
	;; [unrolled: 2-line block ×3, first 2 shown]
	s_add_u32 s12, s12, 8
	v_cmp_ge_u64_e32 vcc, s[30:31], v[2:3]
	s_mul_i32 s22, s36, s22
	s_addc_u32 s13, s13, 0
	s_cbranch_vccnz .LBB0_10
; %bb.8:                                ;   in Loop: Header=BB0_4 Depth=1
	s_mov_b64 s[26:27], s[0:1]
	s_branch .LBB0_4
.LBB0_9:                                ;   in Loop: Header=BB0_4 Depth=1
                                        ; implicit-def: $sgpr0_sgpr1
	s_branch .LBB0_6
.LBB0_10:
	v_mov_b64_e32 v[2:3], s[22:23]
	v_cmp_lt_u64_e32 vcc, s[2:3], v[2:3]
	s_mov_b64 s[26:27], 0
	s_cbranch_vccnz .LBB0_12
; %bb.11:
	v_cvt_f32_u32_e32 v1, s22
	s_sub_i32 s0, 0, s22
	v_rcp_iflag_f32_e32 v1, v1
	s_nop 0
	v_mul_f32_e32 v1, 0x4f7ffffe, v1
	v_cvt_u32_f32_e32 v1, v1
	s_nop 0
	v_readfirstlane_b32 s1, v1
	s_mul_i32 s0, s0, s1
	s_mul_hi_u32 s0, s1, s0
	s_add_i32 s1, s1, s0
	s_mul_hi_u32 s0, s2, s1
	s_mul_i32 s3, s0, s22
	s_sub_i32 s2, s2, s3
	s_add_i32 s1, s0, 1
	s_sub_i32 s3, s2, s22
	s_cmp_ge_u32 s2, s22
	s_cselect_b32 s0, s1, s0
	s_cselect_b32 s2, s3, s2
	s_add_i32 s1, s0, 1
	s_cmp_ge_u32 s2, s22
	s_cselect_b32 s26, s1, s0
.LBB0_12:
	s_lshl_b64 s[0:1], s[10:11], 3
	s_add_u32 s0, s14, s0
	s_addc_u32 s1, s15, s1
	s_load_dwordx2 s[0:1], s[0:1], 0x0
	v_mul_u32_u24_e32 v1, 0xaab, v0
	v_lshrrev_b32_e32 v1, 16, v1
	v_mul_lo_u16_e32 v2, 24, v1
	v_sub_u16_e32 v8, v0, v2
	s_waitcnt lgkmcnt(0)
	s_mul_i32 s0, s0, s26
	s_add_u32 s5, s0, s5
	s_add_u32 s0, s24, 24
	s_addc_u32 s1, s25, 0
	v_mov_b64_e32 v[2:3], s[20:21]
	v_cmp_le_u64_e32 vcc, s[0:1], v[2:3]
	v_mad_u64_u32 v[2:3], s[0:1], s6, v8, 0
	v_mov_b32_e32 v9, 0
	s_movk_i32 s0, 0x120
	s_movk_i32 s1, 0x11f
	v_lshl_add_u64 v[4:5], s[24:25], 0, v[8:9]
	v_cmp_lt_u32_e64 s[2:3], s1, v0
	v_cmp_gt_u32_e64 s[0:1], s0, v0
	s_or_b64 s[2:3], s[2:3], vcc
	v_mov_b32_e32 v6, 0
	v_cndmask_b32_e64 v3, 0, 1, s[0:1]
	v_cmp_gt_u64_e64 s[0:1], s[20:21], v[4:5]
	v_mov_b32_e32 v7, 0
	s_nop 0
	v_cndmask_b32_e64 v5, 0, 1, s[0:1]
	v_cndmask_b32_e64 v3, v5, v3, s[2:3]
	v_and_b32_e32 v3, 1, v3
	v_cmp_eq_u32_e64 s[2:3], 1, v3
	s_and_saveexec_b64 s[6:7], s[2:3]
	s_cbranch_execz .LBB0_14
; %bb.13:
	v_mul_lo_u32 v3, s4, v1
	v_add3_u32 v6, s5, v2, v3
	v_mov_b32_e32 v7, v9
	v_lshl_add_u64 v[6:7], v[6:7], 3, s[16:17]
	global_load_dwordx2 v[6:7], v[6:7], off
.LBB0_14:
	s_or_b64 exec, exec, s[6:7]
	v_mov_b32_e32 v11, 0
	s_and_saveexec_b64 s[6:7], s[2:3]
	s_cbranch_execz .LBB0_16
; %bb.15:
	v_add_u32_e32 v3, 12, v1
	v_mul_lo_u32 v3, s4, v3
	v_add3_u32 v10, s5, v2, v3
	v_mov_b32_e32 v11, 0
	v_lshl_add_u64 v[10:11], v[10:11], 3, s[16:17]
	global_load_dwordx2 v[10:11], v[10:11], off
	s_waitcnt vmcnt(0)
	v_mov_b32_e32 v9, v10
.LBB0_16:
	s_or_b64 exec, exec, s[6:7]
	v_mov_b32_e32 v12, 0
	v_mov_b32_e32 v14, 0
	;; [unrolled: 1-line block ×3, first 2 shown]
	s_and_saveexec_b64 s[6:7], s[2:3]
	s_cbranch_execz .LBB0_18
; %bb.17:
	v_add_u32_e32 v3, 24, v1
	v_mul_lo_u32 v3, s4, v3
	v_add3_u32 v14, s5, v2, v3
	v_mov_b32_e32 v15, 0
	v_lshl_add_u64 v[14:15], v[14:15], 3, s[16:17]
	global_load_dwordx2 v[14:15], v[14:15], off
.LBB0_18:
	s_or_b64 exec, exec, s[6:7]
	v_mov_b32_e32 v13, 0
	s_and_saveexec_b64 s[6:7], s[2:3]
	s_cbranch_execz .LBB0_20
; %bb.19:
	v_add_u32_e32 v3, 36, v1
	v_mul_lo_u32 v3, s4, v3
	v_add3_u32 v12, s5, v2, v3
	v_mov_b32_e32 v13, 0
	v_lshl_add_u64 v[12:13], v[12:13], 3, s[16:17]
	global_load_dwordx2 v[12:13], v[12:13], off
.LBB0_20:
	s_or_b64 exec, exec, s[6:7]
	v_mov_b32_e32 v16, 0
	v_mov_b32_e32 v18, 0
	;; [unrolled: 1-line block ×3, first 2 shown]
	s_and_saveexec_b64 s[6:7], s[2:3]
	s_cbranch_execz .LBB0_22
; %bb.21:
	v_add_u32_e32 v3, 48, v1
	v_mul_lo_u32 v3, s4, v3
	v_add3_u32 v18, s5, v2, v3
	v_mov_b32_e32 v19, 0
	v_lshl_add_u64 v[18:19], v[18:19], 3, s[16:17]
	global_load_dwordx2 v[18:19], v[18:19], off
.LBB0_22:
	s_or_b64 exec, exec, s[6:7]
	v_mov_b32_e32 v17, 0
	s_and_saveexec_b64 s[6:7], s[2:3]
	s_cbranch_execz .LBB0_24
; %bb.23:
	v_add_u32_e32 v3, 60, v1
	v_mul_lo_u32 v3, s4, v3
	v_add3_u32 v16, s5, v2, v3
	v_mov_b32_e32 v17, 0
	v_lshl_add_u64 v[16:17], v[16:17], 3, s[16:17]
	global_load_dwordx2 v[16:17], v[16:17], off
.LBB0_24:
	s_or_b64 exec, exec, s[6:7]
	v_mov_b32_e32 v20, 0
	v_mov_b32_e32 v21, 0
	s_and_saveexec_b64 s[6:7], s[2:3]
	s_cbranch_execz .LBB0_26
; %bb.25:
	v_add_u32_e32 v3, 0x48, v1
	v_mul_lo_u32 v3, s4, v3
	v_add3_u32 v20, s5, v2, v3
	v_mov_b32_e32 v21, 0
	v_lshl_add_u64 v[20:21], v[20:21], 3, s[16:17]
	global_load_dwordx2 v[20:21], v[20:21], off
.LBB0_26:
	s_or_b64 exec, exec, s[6:7]
	s_movk_i32 s2, 0x120
	v_cmp_gt_u32_e64 s[2:3], s2, v0
	v_lshlrev_b32_e32 v5, 3, v8
	s_and_saveexec_b64 s[6:7], s[2:3]
	s_cbranch_execz .LBB0_28
; %bb.27:
	v_mov_b32_e32 v10, v9
	s_waitcnt vmcnt(0)
	v_pk_add_f32 v[22:23], v[10:11], v[20:21] neg_lo:[0,1] neg_hi:[0,1]
	v_pk_add_f32 v[24:25], v[18:19], v[12:13] neg_lo:[0,1] neg_hi:[0,1]
	v_pk_add_f32 v[10:11], v[10:11], v[20:21]
	v_mov_b32_e32 v8, v9
	v_mov_b32_e32 v9, v13
	;; [unrolled: 1-line block ×5, first 2 shown]
	v_pk_add_f32 v[26:27], v[14:15], v[16:17] neg_lo:[0,1] neg_hi:[0,1]
	v_pk_add_f32 v[8:9], v[8:9], v[20:21]
	v_pk_add_f32 v[12:13], v[12:13], v[18:19]
	;; [unrolled: 1-line block ×3, first 2 shown]
	s_mov_b32 s2, 0x3f4a47b2
	v_mov_b32_e32 v10, v12
	v_mov_b32_e32 v15, v9
	s_mov_b32 s3, 0x3d64c772
	v_pk_add_f32 v[20:21], v[10:11], v[14:15] neg_lo:[0,1] neg_hi:[0,1]
	v_mov_b32_e32 v15, v13
	v_mov_b32_e32 v10, v8
	v_pk_add_f32 v[16:17], v[8:9], v[12:13] neg_lo:[0,1] neg_hi:[0,1]
	s_mov_b32 s10, s3
	s_mov_b32 s11, s2
	v_pk_add_f32 v[28:29], v[14:15], v[10:11]
	v_mov_b32_e32 v13, v9
	v_pk_mul_f32 v[20:21], v[20:21], s[10:11]
	v_pk_add_f32 v[8:9], v[12:13], v[28:29]
	v_pk_mul_f32 v[18:19], v[16:17], s[2:3]
	v_pk_fma_f32 v[16:17], v[16:17], s[2:3], v[20:21]
	v_pk_add_f32 v[6:7], v[6:7], v[8:9]
	s_mov_b32 s2, 0xbf955555
	v_pk_fma_f32 v[8:9], v[8:9], s[2:3], v[6:7] op_sel_hi:[1,0,1]
	s_mov_b32 s2, 0x3eae86e6
	s_mov_b32 s3, 0xbf08b237
	v_mov_b32_e32 v30, v25
	v_mov_b32_e32 v31, v22
	;; [unrolled: 1-line block ×4, first 2 shown]
	v_pk_add_f32 v[12:13], v[16:17], v[8:9]
	v_mov_b32_e32 v16, v23
	v_mov_b32_e32 v17, v24
	;; [unrolled: 1-line block ×4, first 2 shown]
	v_pk_add_f32 v[30:31], v[30:31], v[32:33] neg_lo:[0,1] neg_hi:[0,1]
	s_mov_b32 s10, s3
	s_mov_b32 s11, s2
	v_pk_add_f32 v[16:17], v[16:17], v[28:29] neg_lo:[0,1] neg_hi:[0,1]
	v_pk_mul_f32 v[30:31], v[30:31], s[10:11]
	v_pk_add_f32 v[24:25], v[24:25], v[26:27]
	v_pk_mul_f32 v[28:29], v[16:17], s[2:3]
	v_pk_fma_f32 v[16:17], v[16:17], s[2:3], v[30:31]
	v_pk_add_f32 v[24:25], v[24:25], v[22:23]
	s_mov_b32 s2, 0x3ee1c552
	v_pk_mul_f32 v[32:33], v[24:25], s[2:3] op_sel_hi:[1,0]
	v_mul_u32_u24_e32 v3, 0x540, v1
	v_pk_add_f32 v[16:17], v[32:33], v[16:17] op_sel:[1,0] op_sel_hi:[0,1]
	v_pk_add_f32 v[32:33], v[12:13], v[16:17]
	v_pk_add_f32 v[12:13], v[12:13], v[16:17] neg_lo:[0,1] neg_hi:[0,1]
	v_add3_u32 v3, 0, v3, v5
	v_mov_b32_e32 v16, v32
	v_mov_b32_e32 v17, v13
	ds_write2_b64 v3, v[6:7], v[16:17] offset1:24
	v_pk_add_f32 v[6:7], v[14:15], v[10:11] neg_lo:[0,1] neg_hi:[0,1]
	s_mov_b32 s10, 0x3f3bfb3b
	v_pk_add_f32 v[10:11], v[26:27], v[22:23] neg_lo:[0,1] neg_hi:[0,1]
	s_mov_b32 s12, 0x3f5ff5aa
	v_mov_b32_e32 v14, v18
	v_mov_b32_e32 v15, v21
	;; [unrolled: 1-line block ×7, first 2 shown]
	v_pk_fma_f32 v[14:15], v[6:7], s[10:11], v[14:15] op_sel_hi:[1,0,1] neg_lo:[1,0,1] neg_hi:[1,0,1]
	v_pk_fma_f32 v[16:17], v[10:11], s[12:13], v[16:17] op_sel_hi:[1,0,1] neg_lo:[1,0,1] neg_hi:[1,0,1]
	;; [unrolled: 1-line block ×4, first 2 shown]
	v_pk_add_f32 v[14:15], v[14:15], v[8:9]
	v_pk_fma_f32 v[16:17], v[24:25], s[2:3], v[16:17] op_sel_hi:[1,0,1]
	v_pk_fma_f32 v[10:11], v[24:25], s[2:3], v[10:11] op_sel_hi:[1,0,1]
	v_pk_add_f32 v[6:7], v[6:7], v[8:9]
	v_pk_add_f32 v[22:23], v[14:15], v[16:17] op_sel:[0,1] op_sel_hi:[1,0]
	v_pk_add_f32 v[14:15], v[14:15], v[16:17] op_sel:[0,1] op_sel_hi:[1,0] neg_lo:[0,1] neg_hi:[0,1]
	v_pk_add_f32 v[8:9], v[6:7], v[10:11] op_sel:[0,1] op_sel_hi:[1,0] neg_lo:[0,1] neg_hi:[0,1]
	v_pk_add_f32 v[6:7], v[6:7], v[10:11] op_sel:[0,1] op_sel_hi:[1,0]
	v_mov_b32_e32 v16, v22
	v_mov_b32_e32 v17, v15
	;; [unrolled: 1-line block ×7, first 2 shown]
	ds_write2_b64 v3, v[16:17], v[10:11] offset0:48 offset1:72
	ds_write2_b64 v3, v[6:7], v[14:15] offset0:96 offset1:120
	ds_write_b64 v3, v[12:13] offset:1152
.LBB0_28:
	s_or_b64 exec, exec, s[6:7]
	v_mov_b32_e32 v8, 0x206
	v_mad_legacy_u16 v8, v1, 37, v8
	v_lshrrev_b16_e32 v28, 8, v8
	v_mul_lo_u16_e32 v8, 7, v28
	v_sub_u16_e32 v8, v1, v8
	v_add_u16_e32 v8, 14, v8
	v_and_b32_e32 v29, 0xff, v8
	v_mov_b32_e32 v8, 0x40c
	v_mad_legacy_u16 v8, v1, 37, v8
	v_lshrrev_b16_e32 v30, 8, v8
	v_mul_lo_u16_e32 v8, 7, v30
	s_waitcnt vmcnt(0)
	v_mul_lo_u16_e32 v7, 37, v1
	v_sub_u16_e32 v8, v1, v8
	v_lshrrev_b16_e32 v26, 8, v7
	v_add_u16_e32 v8, 28, v8
	v_mul_lo_u16_e32 v3, 7, v26
	v_and_b32_e32 v31, 0xff, v8
	v_sub_u16_e32 v27, v1, v3
	v_mov_b32_e32 v3, 3
	v_lshlrev_b32_e32 v15, 3, v31
	s_waitcnt lgkmcnt(0)
	s_barrier
	v_lshlrev_b32_sdwa v6, v3, v27 dst_sel:DWORD dst_unused:UNUSED_PAD src0_sel:DWORD src1_sel:BYTE_0
	v_lshlrev_b32_e32 v14, 3, v29
	global_load_dwordx2 v[8:9], v15, s[18:19]
	global_load_dwordx2 v[10:11], v14, s[18:19]
	;; [unrolled: 1-line block ×3, first 2 shown]
	v_mul_u32_u24_e32 v6, 0xc0, v1
	s_movk_i32 s2, 0xc0
	v_add3_u32 v6, 0, v6, v5
	v_mad_legacy_u16 v26, v26, 14, v27
	ds_read_b64 v[14:15], v6
	ds_read_b64 v[16:17], v6 offset:10752
	ds_read_b64 v[18:19], v6 offset:13440
	;; [unrolled: 1-line block ×5, first 2 shown]
	v_mul_u32_u24_sdwa v26, v26, s2 dst_sel:DWORD dst_unused:UNUSED_PAD src0_sel:BYTE_0 src1_sel:DWORD
	v_add3_u32 v34, 0, v26, v5
	v_mad_u32_u24 v26, v28, 14, v29
	v_mad_u32_u24 v27, v30, 14, v31
	v_mul_u32_u24_e32 v26, 0xc0, v26
	v_mul_u32_u24_e32 v27, 0xc0, v27
	v_add3_u32 v35, 0, v26, v5
	v_add3_u32 v5, 0, v27, v5
	s_or_b64 s[0:1], vcc, s[0:1]
	s_waitcnt lgkmcnt(0)
	s_barrier
	s_waitcnt vmcnt(2)
	v_pk_mul_f32 v[26:27], v[8:9], v[18:19] op_sel:[0,1]
	s_waitcnt vmcnt(1)
	v_pk_mul_f32 v[28:29], v[10:11], v[16:17] op_sel:[0,1]
	;; [unrolled: 2-line block ×3, first 2 shown]
	v_pk_fma_f32 v[32:33], v[8:9], v[18:19], v[26:27] op_sel:[0,0,1] op_sel_hi:[1,1,0] neg_lo:[0,0,1] neg_hi:[0,0,1]
	v_pk_fma_f32 v[8:9], v[8:9], v[18:19], v[26:27] op_sel:[0,0,1] op_sel_hi:[1,0,0]
	v_pk_fma_f32 v[18:19], v[10:11], v[16:17], v[28:29] op_sel:[0,0,1] op_sel_hi:[1,1,0] neg_lo:[0,0,1] neg_hi:[0,0,1]
	v_pk_fma_f32 v[10:11], v[10:11], v[16:17], v[28:29] op_sel:[0,0,1] op_sel_hi:[1,0,0]
	;; [unrolled: 2-line block ×3, first 2 shown]
	v_mov_b32_e32 v33, v9
	v_mov_b32_e32 v17, v13
	;; [unrolled: 1-line block ×3, first 2 shown]
	v_pk_add_f32 v[12:13], v[14:15], v[16:17] neg_lo:[0,1] neg_hi:[0,1]
	v_pk_add_f32 v[8:9], v[22:23], v[32:33] neg_lo:[0,1] neg_hi:[0,1]
	;; [unrolled: 1-line block ×3, first 2 shown]
	v_pk_fma_f32 v[14:15], v[14:15], 2.0, v[12:13] op_sel_hi:[1,0,1] neg_lo:[0,0,1] neg_hi:[0,0,1]
	v_pk_fma_f32 v[16:17], v[22:23], 2.0, v[8:9] op_sel_hi:[1,0,1] neg_lo:[0,0,1] neg_hi:[0,0,1]
	;; [unrolled: 1-line block ×3, first 2 shown]
	ds_write2_b64 v34, v[14:15], v[12:13] offset1:168
	ds_write2_b64 v35, v[18:19], v[10:11] offset1:168
	;; [unrolled: 1-line block ×3, first 2 shown]
	s_waitcnt lgkmcnt(0)
	s_barrier
	s_and_saveexec_b64 s[2:3], s[0:1]
	s_cbranch_execz .LBB0_30
; %bb.29:
	v_lshrrev_b16_e32 v5, 9, v7
	v_mul_lo_u16_e32 v5, 14, v5
	v_sub_u16_e32 v1, v1, v5
	v_and_b32_e32 v5, 0xff, v1
	v_mul_u32_u24_e32 v1, 5, v5
	v_lshlrev_b32_e32 v1, 3, v1
	global_load_dwordx4 v[8:11], v1, s[18:19] offset:56
	global_load_dwordx4 v[12:15], v1, s[18:19] offset:72
	global_load_dwordx2 v[16:17], v1, s[18:19] offset:88
	s_movk_i32 s0, 0x187
	v_add_u32_e32 v1, 0x46, v5
	v_mul_u32_u24_sdwa v30, v0, s0 dst_sel:DWORD dst_unused:UNUSED_PAD src0_sel:WORD_0 src1_sel:DWORD
	v_mul_lo_u32 v1, v4, v1
	v_lshrrev_b32_e32 v30, 17, v30
	v_lshlrev_b32_sdwa v7, v3, v1 dst_sel:DWORD dst_unused:UNUSED_PAD src0_sel:DWORD src1_sel:BYTE_0
	v_mul_lo_u16_e32 v30, 0x54, v30
	v_lshlrev_b32_sdwa v1, v3, v1 dst_sel:DWORD dst_unused:UNUSED_PAD src0_sel:DWORD src1_sel:BYTE_1
	global_load_dwordx2 v[18:19], v7, s[8:9]
	global_load_dwordx2 v[20:21], v1, s[8:9] offset:2048
	v_add_u32_e32 v48, v5, v30
	v_add_u32_e32 v30, 56, v5
	v_mul_lo_u32 v30, v4, v30
	v_add_u32_e32 v28, 0xa80, v6
	v_add_u32_e32 v1, 0x1500, v6
	v_lshlrev_b32_sdwa v34, v3, v30 dst_sel:DWORD dst_unused:UNUSED_PAD src0_sel:DWORD src1_sel:BYTE_0
	ds_read_b64 v[22:23], v6
	ds_read_b64 v[24:25], v6 offset:13440
	ds_read_b64 v[26:27], v6 offset:10752
	;; [unrolled: 1-line block ×3, first 2 shown]
	ds_read_b64 v[0:1], v1
	ds_read_b64 v[28:29], v28
	v_lshlrev_b32_sdwa v35, v3, v30 dst_sel:DWORD dst_unused:UNUSED_PAD src0_sel:DWORD src1_sel:BYTE_1
	global_load_dwordx2 v[30:31], v34, s[8:9]
	global_load_dwordx2 v[32:33], v35, s[8:9] offset:2048
	v_add_u32_e32 v34, 42, v5
	v_add_u32_e32 v35, 28, v5
	;; [unrolled: 1-line block ×3, first 2 shown]
	v_mul_lo_u32 v34, v4, v34
	v_mul_lo_u32 v5, v4, v5
	;; [unrolled: 1-line block ×4, first 2 shown]
	v_lshlrev_b32_sdwa v51, v3, v34 dst_sel:DWORD dst_unused:UNUSED_PAD src0_sel:DWORD src1_sel:BYTE_0
	v_lshlrev_b32_sdwa v49, v3, v5 dst_sel:DWORD dst_unused:UNUSED_PAD src0_sel:DWORD src1_sel:BYTE_0
	v_lshlrev_b32_sdwa v50, v3, v5 dst_sel:DWORD dst_unused:UNUSED_PAD src0_sel:DWORD src1_sel:BYTE_1
	v_lshlrev_b32_sdwa v52, v3, v34 dst_sel:DWORD dst_unused:UNUSED_PAD src0_sel:DWORD src1_sel:BYTE_1
	v_lshlrev_b32_sdwa v53, v3, v35 dst_sel:DWORD dst_unused:UNUSED_PAD src0_sel:DWORD src1_sel:BYTE_0
	v_lshlrev_b32_sdwa v54, v3, v35 dst_sel:DWORD dst_unused:UNUSED_PAD src0_sel:DWORD src1_sel:BYTE_1
	v_lshlrev_b32_sdwa v55, v3, v4 dst_sel:DWORD dst_unused:UNUSED_PAD src0_sel:DWORD src1_sel:BYTE_0
	v_lshlrev_b32_sdwa v3, v3, v4 dst_sel:DWORD dst_unused:UNUSED_PAD src0_sel:DWORD src1_sel:BYTE_1
	global_load_dwordx2 v[4:5], v51, s[8:9]
	global_load_dwordx2 v[34:35], v52, s[8:9] offset:2048
	global_load_dwordx2 v[36:37], v53, s[8:9]
	global_load_dwordx2 v[38:39], v54, s[8:9] offset:2048
	;; [unrolled: 2-line block ×4, first 2 shown]
	v_add_u32_e32 v2, s5, v2
	s_waitcnt vmcnt(14) lgkmcnt(1)
	v_mul_f32_e32 v3, v11, v1
	s_waitcnt vmcnt(13)
	v_mul_f32_e32 v49, v15, v27
	v_mul_f32_e32 v15, v15, v26
	;; [unrolled: 1-line block ×3, first 2 shown]
	s_waitcnt vmcnt(12)
	v_mul_f32_e32 v52, v17, v25
	v_mul_f32_e32 v13, v13, v6
	;; [unrolled: 1-line block ×4, first 2 shown]
	s_waitcnt lgkmcnt(0)
	v_mul_f32_e32 v50, v9, v29
	v_mul_f32_e32 v9, v9, v28
	v_fma_f32 v26, v14, v26, -v49
	v_fmac_f32_e32 v15, v14, v27
	v_fma_f32 v14, v12, v6, -v51
	v_fma_f32 v24, v16, v24, -v52
	v_fmac_f32_e32 v13, v12, v7
	v_fmac_f32_e32 v17, v16, v25
	v_fma_f32 v3, v10, v0, -v3
	v_fmac_f32_e32 v11, v10, v1
	v_fma_f32 v10, v8, v28, -v50
	v_fmac_f32_e32 v9, v8, v29
	v_add_f32_e32 v7, v14, v24
	v_add_f32_e32 v16, v13, v17
	v_add_f32_e32 v1, v11, v15
	v_sub_f32_e32 v8, v13, v17
	v_sub_f32_e32 v12, v14, v24
	v_fma_f32 v7, -0.5, v7, v10
	v_fma_f32 v16, -0.5, v16, v9
	;; [unrolled: 1-line block ×3, first 2 shown]
	v_fmamk_f32 v1, v8, 0xbf5db3d7, v7
	v_fmamk_f32 v28, v12, 0x3f5db3d7, v16
	v_add_f32_e32 v50, v3, v26
	s_waitcnt vmcnt(10)
	v_mul_f32_e32 v0, v19, v21
	v_sub_f32_e32 v6, v3, v26
	v_mul_f32_e32 v29, -0.5, v28
	v_fma_f32 v50, -0.5, v50, v22
	v_sub_f32_e32 v51, v11, v15
	v_mul_f32_e32 v53, -0.5, v1
	v_fmac_f32_e32 v7, 0x3f5db3d7, v8
	v_fma_f32 v0, v18, v20, -v0
	v_fmamk_f32 v27, v6, 0x3f5db3d7, v25
	v_fmac_f32_e32 v29, 0xbf5db3d7, v1
	v_fmamk_f32 v52, v51, 0xbf5db3d7, v50
	v_fmac_f32_e32 v53, 0x3f5db3d7, v28
	v_mul_f32_e32 v18, v18, v21
	v_fmac_f32_e32 v16, 0xbf5db3d7, v12
	v_mul_f32_e32 v12, 0xbf5db3d7, v7
	v_sub_f32_e32 v49, v27, v29
	v_sub_f32_e32 v28, v52, v53
	v_fmac_f32_e32 v18, v19, v20
	v_fmac_f32_e32 v12, 0.5, v16
	v_mul_f32_e32 v16, 0x3f5db3d7, v16
	v_mul_f32_e32 v1, v28, v18
	;; [unrolled: 1-line block ×3, first 2 shown]
	v_fmac_f32_e32 v50, 0x3f5db3d7, v51
	v_fmac_f32_e32 v16, 0.5, v7
	s_waitcnt vmcnt(8)
	v_mul_f32_e32 v19, v30, v33
	v_fmac_f32_e32 v1, v49, v0
	v_fma_f32 v0, v28, v0, -v18
	v_fmac_f32_e32 v25, 0xbf5db3d7, v6
	v_mul_f32_e32 v8, v31, v33
	v_sub_f32_e32 v18, v50, v16
	v_fmac_f32_e32 v19, v31, v32
	v_sub_f32_e32 v6, v25, v12
	v_fma_f32 v8, v30, v32, -v8
	v_mul_f32_e32 v7, v18, v19
	v_fmac_f32_e32 v7, v6, v8
	v_mul_f32_e32 v6, v6, v19
	v_fma_f32 v6, v18, v8, -v6
	v_add_f32_e32 v8, v23, v11
	v_add_f32_e32 v18, v8, v15
	;; [unrolled: 1-line block ×3, first 2 shown]
	s_waitcnt vmcnt(6)
	v_mul_f32_e32 v9, v5, v35
	v_add_f32_e32 v3, v22, v3
	v_add_f32_e32 v10, v10, v14
	;; [unrolled: 1-line block ×3, first 2 shown]
	v_fma_f32 v9, v4, v34, -v9
	v_add_f32_e32 v3, v3, v26
	v_add_f32_e32 v19, v10, v24
	v_mul_f32_e32 v4, v4, v35
	v_sub_f32_e32 v8, v18, v17
	v_sub_f32_e32 v10, v3, v19
	v_fmac_f32_e32 v4, v5, v34
	v_mul_f32_e32 v5, v10, v4
	v_mul_f32_e32 v4, v8, v4
	s_waitcnt vmcnt(4)
	v_mul_f32_e32 v13, v36, v39
	v_fmac_f32_e32 v5, v8, v9
	v_fma_f32 v4, v10, v9, -v4
	v_mul_f32_e32 v9, v37, v39
	v_add_f32_e32 v11, v52, v53
	v_fmac_f32_e32 v13, v37, v38
	v_add_f32_e32 v8, v27, v29
	v_fma_f32 v10, v36, v38, -v9
	v_mul_f32_e32 v9, v11, v13
	v_fmac_f32_e32 v9, v8, v10
	v_mul_f32_e32 v8, v8, v13
	s_waitcnt vmcnt(2)
	v_mul_f32_e32 v13, v40, v43
	v_fma_f32 v8, v11, v10, -v8
	v_mul_f32_e32 v10, v41, v43
	v_fmac_f32_e32 v13, v41, v42
	v_add_f32_e32 v14, v50, v16
	v_fma_f32 v10, v40, v42, -v10
	v_add_f32_e32 v12, v25, v12
	v_mul_f32_e32 v11, v13, v14
	v_fmac_f32_e32 v11, v10, v12
	v_mul_f32_e32 v12, v13, v12
	v_fma_f32 v10, v10, v14, -v12
	v_mad_u64_u32 v[12:13], s[0:1], s4, v48, v[2:3]
	v_mov_b32_e32 v13, 0
	v_lshl_add_u64 v[14:15], v[12:13], 3, s[16:17]
	v_add_f32_e32 v12, v18, v17
	s_waitcnt vmcnt(0)
	v_mul_f32_e32 v18, v44, v47
	v_mul_f32_e32 v16, v45, v47
	v_add_f32_e32 v3, v3, v19
	v_fmac_f32_e32 v18, v46, v45
	v_fma_f32 v16, v44, v46, -v16
	v_mul_f32_e32 v17, v3, v18
	v_fmac_f32_e32 v17, v12, v16
	v_mul_f32_e32 v12, v12, v18
	v_fma_f32 v16, v3, v16, -v12
	v_add_u32_e32 v3, 14, v48
	global_store_dwordx2 v[14:15], v[16:17], off
	v_mad_u64_u32 v[14:15], s[0:1], s4, v3, v[2:3]
	v_mov_b32_e32 v15, v13
	v_lshl_add_u64 v[14:15], v[14:15], 3, s[16:17]
	v_add_u32_e32 v3, 28, v48
	global_store_dwordx2 v[14:15], v[10:11], off
	v_mad_u64_u32 v[10:11], s[0:1], s4, v3, v[2:3]
	v_mov_b32_e32 v11, v13
	v_lshl_add_u64 v[10:11], v[10:11], 3, s[16:17]
	;; [unrolled: 5-line block ×3, first 2 shown]
	v_add_u32_e32 v3, 56, v48
	global_store_dwordx2 v[8:9], v[4:5], off
	v_mad_u64_u32 v[4:5], s[0:1], s4, v3, v[2:3]
	v_add_u32_e32 v3, 0x46, v48
	v_mad_u64_u32 v[2:3], s[0:1], s4, v3, v[2:3]
	v_mov_b32_e32 v5, v13
	v_mov_b32_e32 v3, v13
	v_lshl_add_u64 v[4:5], v[4:5], 3, s[16:17]
	v_lshl_add_u64 v[2:3], v[2:3], 3, s[16:17]
	global_store_dwordx2 v[4:5], v[6:7], off
	global_store_dwordx2 v[2:3], v[0:1], off
.LBB0_30:
	s_endpgm
	.section	.rodata,"a",@progbits
	.p2align	6, 0x0
	.amdhsa_kernel fft_rtc_fwd_len84_factors_7_2_6_wgs_336_tpt_14_sp_ip_CI_sbcc_twdbase8_2step_dirReg_intrinsicReadWrite
		.amdhsa_group_segment_fixed_size 0
		.amdhsa_private_segment_fixed_size 0
		.amdhsa_kernarg_size 96
		.amdhsa_user_sgpr_count 2
		.amdhsa_user_sgpr_dispatch_ptr 0
		.amdhsa_user_sgpr_queue_ptr 0
		.amdhsa_user_sgpr_kernarg_segment_ptr 1
		.amdhsa_user_sgpr_dispatch_id 0
		.amdhsa_user_sgpr_kernarg_preload_length 0
		.amdhsa_user_sgpr_kernarg_preload_offset 0
		.amdhsa_user_sgpr_private_segment_size 0
		.amdhsa_uses_dynamic_stack 0
		.amdhsa_enable_private_segment 0
		.amdhsa_system_sgpr_workgroup_id_x 1
		.amdhsa_system_sgpr_workgroup_id_y 0
		.amdhsa_system_sgpr_workgroup_id_z 0
		.amdhsa_system_sgpr_workgroup_info 0
		.amdhsa_system_vgpr_workitem_id 0
		.amdhsa_next_free_vgpr 56
		.amdhsa_next_free_sgpr 43
		.amdhsa_accum_offset 56
		.amdhsa_reserve_vcc 1
		.amdhsa_float_round_mode_32 0
		.amdhsa_float_round_mode_16_64 0
		.amdhsa_float_denorm_mode_32 3
		.amdhsa_float_denorm_mode_16_64 3
		.amdhsa_dx10_clamp 1
		.amdhsa_ieee_mode 1
		.amdhsa_fp16_overflow 0
		.amdhsa_tg_split 0
		.amdhsa_exception_fp_ieee_invalid_op 0
		.amdhsa_exception_fp_denorm_src 0
		.amdhsa_exception_fp_ieee_div_zero 0
		.amdhsa_exception_fp_ieee_overflow 0
		.amdhsa_exception_fp_ieee_underflow 0
		.amdhsa_exception_fp_ieee_inexact 0
		.amdhsa_exception_int_div_zero 0
	.end_amdhsa_kernel
	.text
.Lfunc_end0:
	.size	fft_rtc_fwd_len84_factors_7_2_6_wgs_336_tpt_14_sp_ip_CI_sbcc_twdbase8_2step_dirReg_intrinsicReadWrite, .Lfunc_end0-fft_rtc_fwd_len84_factors_7_2_6_wgs_336_tpt_14_sp_ip_CI_sbcc_twdbase8_2step_dirReg_intrinsicReadWrite
                                        ; -- End function
	.section	.AMDGPU.csdata,"",@progbits
; Kernel info:
; codeLenInByte = 4432
; NumSgprs: 49
; NumVgprs: 56
; NumAgprs: 0
; TotalNumVgprs: 56
; ScratchSize: 0
; MemoryBound: 0
; FloatMode: 240
; IeeeMode: 1
; LDSByteSize: 0 bytes/workgroup (compile time only)
; SGPRBlocks: 6
; VGPRBlocks: 6
; NumSGPRsForWavesPerEU: 49
; NumVGPRsForWavesPerEU: 56
; AccumOffset: 56
; Occupancy: 8
; WaveLimiterHint : 1
; COMPUTE_PGM_RSRC2:SCRATCH_EN: 0
; COMPUTE_PGM_RSRC2:USER_SGPR: 2
; COMPUTE_PGM_RSRC2:TRAP_HANDLER: 0
; COMPUTE_PGM_RSRC2:TGID_X_EN: 1
; COMPUTE_PGM_RSRC2:TGID_Y_EN: 0
; COMPUTE_PGM_RSRC2:TGID_Z_EN: 0
; COMPUTE_PGM_RSRC2:TIDIG_COMP_CNT: 0
; COMPUTE_PGM_RSRC3_GFX90A:ACCUM_OFFSET: 13
; COMPUTE_PGM_RSRC3_GFX90A:TG_SPLIT: 0
	.text
	.p2alignl 6, 3212836864
	.fill 256, 4, 3212836864
	.type	__hip_cuid_4f6ab7a7f900d995,@object ; @__hip_cuid_4f6ab7a7f900d995
	.section	.bss,"aw",@nobits
	.globl	__hip_cuid_4f6ab7a7f900d995
__hip_cuid_4f6ab7a7f900d995:
	.byte	0                               ; 0x0
	.size	__hip_cuid_4f6ab7a7f900d995, 1

	.ident	"AMD clang version 19.0.0git (https://github.com/RadeonOpenCompute/llvm-project roc-6.4.0 25133 c7fe45cf4b819c5991fe208aaa96edf142730f1d)"
	.section	".note.GNU-stack","",@progbits
	.addrsig
	.addrsig_sym __hip_cuid_4f6ab7a7f900d995
	.amdgpu_metadata
---
amdhsa.kernels:
  - .agpr_count:     0
    .args:
      - .actual_access:  read_only
        .address_space:  global
        .offset:         0
        .size:           8
        .value_kind:     global_buffer
      - .address_space:  global
        .offset:         8
        .size:           8
        .value_kind:     global_buffer
      - .offset:         16
        .size:           8
        .value_kind:     by_value
      - .actual_access:  read_only
        .address_space:  global
        .offset:         24
        .size:           8
        .value_kind:     global_buffer
      - .actual_access:  read_only
        .address_space:  global
        .offset:         32
        .size:           8
        .value_kind:     global_buffer
      - .offset:         40
        .size:           8
        .value_kind:     by_value
      - .actual_access:  read_only
        .address_space:  global
        .offset:         48
        .size:           8
        .value_kind:     global_buffer
      - .actual_access:  read_only
        .address_space:  global
        .offset:         56
        .size:           8
        .value_kind:     global_buffer
      - .offset:         64
        .size:           4
        .value_kind:     by_value
      - .actual_access:  read_only
        .address_space:  global
        .offset:         72
        .size:           8
        .value_kind:     global_buffer
      - .actual_access:  read_only
        .address_space:  global
        .offset:         80
        .size:           8
        .value_kind:     global_buffer
      - .address_space:  global
        .offset:         88
        .size:           8
        .value_kind:     global_buffer
    .group_segment_fixed_size: 0
    .kernarg_segment_align: 8
    .kernarg_segment_size: 96
    .language:       OpenCL C
    .language_version:
      - 2
      - 0
    .max_flat_workgroup_size: 336
    .name:           fft_rtc_fwd_len84_factors_7_2_6_wgs_336_tpt_14_sp_ip_CI_sbcc_twdbase8_2step_dirReg_intrinsicReadWrite
    .private_segment_fixed_size: 0
    .sgpr_count:     49
    .sgpr_spill_count: 0
    .symbol:         fft_rtc_fwd_len84_factors_7_2_6_wgs_336_tpt_14_sp_ip_CI_sbcc_twdbase8_2step_dirReg_intrinsicReadWrite.kd
    .uniform_work_group_size: 1
    .uses_dynamic_stack: false
    .vgpr_count:     56
    .vgpr_spill_count: 0
    .wavefront_size: 64
amdhsa.target:   amdgcn-amd-amdhsa--gfx950
amdhsa.version:
  - 1
  - 2
...

	.end_amdgpu_metadata
